;; amdgpu-corpus repo=zjin-lcf/HeCBench kind=compiled arch=gfx1250 opt=O3
	.amdgcn_target "amdgcn-amd-amdhsa--gfx1250"
	.amdhsa_code_object_version 6
	.text
	.protected	_Z15jk3_hash_kernelPKjS0_S0_Pji ; -- Begin function _Z15jk3_hash_kernelPKjS0_S0_Pji
	.globl	_Z15jk3_hash_kernelPKjS0_S0_Pji
	.p2align	8
	.type	_Z15jk3_hash_kernelPKjS0_S0_Pji,@function
_Z15jk3_hash_kernelPKjS0_S0_Pji:        ; @_Z15jk3_hash_kernelPKjS0_S0_Pji
; %bb.0:
	s_clause 0x1
	s_load_b32 s2, s[0:1], 0x34
	s_load_b32 s3, s[0:1], 0x20
	s_bfe_u32 s4, ttmp6, 0x4000c
	s_and_b32 s5, ttmp6, 15
	s_add_co_i32 s4, s4, 1
	s_getreg_b32 s6, hwreg(HW_REG_IB_STS2, 6, 4)
	s_mul_i32 s4, ttmp9, s4
	s_delay_alu instid0(SALU_CYCLE_1) | instskip(SKIP_4) | instid1(SALU_CYCLE_1)
	s_add_co_i32 s5, s5, s4
	s_wait_kmcnt 0x0
	s_and_b32 s2, s2, 0xffff
	s_cmp_eq_u32 s6, 0
	s_cselect_b32 s4, ttmp9, s5
	v_mad_u32 v4, s4, s2, v0
	s_mov_b32 s2, exec_lo
	s_delay_alu instid0(VALU_DEP_1)
	v_cmpx_gt_i32_e64 s3, v4
	s_cbranch_execz .LBB0_10
; %bb.1:
	s_clause 0x1
	s_load_b128 s[4:7], s[0:1], 0x0
	s_load_b64 s[2:3], s[0:1], 0x10
	v_ashrrev_i32_e32 v5, 31, v4
	s_wait_kmcnt 0x0
	s_clause 0x1
	global_load_b32 v3, v4, s[4:5] scale_offset
	global_load_b32 v1, v4, s[6:7] scale_offset
	s_wait_loadcnt 0x0
	v_add3_u32 v6, v3, v1, 0xdeadbeef
	s_delay_alu instid0(VALU_DEP_1) | instskip(NEXT) | instid1(VALU_DEP_1)
	v_dual_mov_b32 v7, v6 :: v_dual_lshlrev_b32 v0, 4, v4
	v_ashrrev_i32_e32 v1, 31, v0
	s_delay_alu instid0(VALU_DEP_2) | instskip(NEXT) | instid1(VALU_DEP_2)
	v_mov_b64_e32 v[8:9], v[6:7]
	v_lshl_add_u64 v[0:1], v[0:1], 2, s[2:3]
	s_mov_b32 s2, exec_lo
	v_cmpx_lt_u32_e32 12, v3
	s_cbranch_execz .LBB0_5
; %bb.2:
	v_dual_mov_b32 v8, v6 :: v_dual_mov_b32 v9, v6
	s_mov_b32 s3, 0
.LBB0_3:                                ; =>This Inner Loop Header: Depth=1
	s_delay_alu instid0(VALU_DEP_2) | instskip(SKIP_2) | instid1(VALU_DEP_1)
	v_mov_b64_e32 v[10:11], v[0:1]
	global_load_b96 v[0:2], v[0:1], off
	v_add_nc_u32_e32 v3, -12, v3
	v_cmp_gt_u32_e32 vcc_lo, 13, v3
	s_or_b32 s3, vcc_lo, s3
	s_wait_loadcnt 0x0
	v_dual_add_nc_u32 v0, v0, v6 :: v_dual_add_nc_u32 v2, v2, v9
	s_delay_alu instid0(VALU_DEP_1) | instskip(SKIP_1) | instid1(VALU_DEP_1)
	v_dual_add_nc_u32 v1, v1, v8 :: v_dual_sub_nc_u32 v0, v0, v2
	v_alignbit_b32 v6, v2, v2, 28
	v_dual_add_nc_u32 v2, v2, v1 :: v_dual_bitop2_b32 v0, v0, v6 bitop3:0x14
	s_delay_alu instid0(VALU_DEP_1) | instskip(SKIP_1) | instid1(VALU_DEP_3)
	v_sub_nc_u32_e32 v1, v1, v0
	v_alignbit_b32 v6, v0, v0, 26
	v_add_nc_u32_e32 v0, v0, v2
	s_delay_alu instid0(VALU_DEP_2) | instskip(NEXT) | instid1(VALU_DEP_1)
	v_xor_b32_e32 v1, v1, v6
	v_sub_nc_u32_e32 v6, v2, v1
	v_alignbit_b32 v7, v1, v1, 24
	s_delay_alu instid0(VALU_DEP_1) | instskip(NEXT) | instid1(VALU_DEP_1)
	v_xor_b32_e32 v2, v6, v7
	v_sub_nc_u32_e32 v6, v0, v2
	v_alignbit_b32 v7, v2, v2, 16
	s_delay_alu instid0(VALU_DEP_1) | instskip(NEXT) | instid1(VALU_DEP_1)
	v_dual_add_nc_u32 v0, v1, v0 :: v_dual_bitop2_b32 v1, v6, v7 bitop3:0x14
	v_sub_nc_u32_e32 v6, v0, v1
	v_alignbit_b32 v7, v1, v1, 13
	v_add_nc_u32_e32 v0, v2, v0
	s_delay_alu instid0(VALU_DEP_2) | instskip(NEXT) | instid1(VALU_DEP_1)
	v_xor_b32_e32 v2, v6, v7
	v_dual_sub_nc_u32 v7, v0, v2 :: v_dual_add_nc_u32 v6, v1, v0
	v_alignbit_b32 v9, v2, v2, 28
	v_add_nc_u64_e32 v[0:1], 12, v[10:11]
	s_delay_alu instid0(VALU_DEP_2)
	v_dual_add_nc_u32 v8, v2, v6 :: v_dual_bitop2_b32 v9, v7, v9 bitop3:0x14
	s_and_not1_b32 exec_lo, exec_lo, s3
	s_cbranch_execnz .LBB0_3
; %bb.4:
	s_or_b32 exec_lo, exec_lo, s3
.LBB0_5:
	s_delay_alu instid0(SALU_CYCLE_1)
	s_or_b32 exec_lo, exec_lo, s2
	global_load_b96 v[0:2], v[0:1], off
	s_load_b64 s[0:1], s[0:1], 0x18
	s_mov_b32 s2, 0
	s_mov_b32 s3, exec_lo
	v_cmpx_lt_i32_e32 6, v3
	s_xor_b32 s3, exec_lo, s3
	s_cbranch_execnz .LBB0_11
; %bb.6:
	s_and_not1_saveexec_b32 s3, s3
	s_cbranch_execnz .LBB0_30
.LBB0_7:
	s_or_b32 exec_lo, exec_lo, s3
	s_and_saveexec_b32 s3, s2
	s_cbranch_execz .LBB0_9
.LBB0_8:
	s_wait_loadcnt 0x0
	v_xor_b32_e32 v1, v8, v9
	v_alignbit_b32 v2, v8, v8, 18
	s_delay_alu instid0(VALU_DEP_1) | instskip(SKIP_1) | instid1(VALU_DEP_2)
	v_sub_nc_u32_e32 v1, v1, v2
	v_add_nc_u32_e32 v0, v0, v6
	v_alignbit_b32 v2, v1, v1, 21
	s_delay_alu instid0(VALU_DEP_2) | instskip(NEXT) | instid1(VALU_DEP_1)
	v_xor_b32_e32 v0, v0, v1
	v_sub_nc_u32_e32 v0, v0, v2
	s_delay_alu instid0(VALU_DEP_1) | instskip(SKIP_1) | instid1(VALU_DEP_1)
	v_xor_b32_e32 v2, v0, v8
	v_alignbit_b32 v3, v0, v0, 7
	v_sub_nc_u32_e32 v2, v2, v3
	s_delay_alu instid0(VALU_DEP_1) | instskip(SKIP_1) | instid1(VALU_DEP_1)
	v_xor_b32_e32 v1, v2, v1
	v_alignbit_b32 v3, v2, v2, 16
	;; [unrolled: 4-line block ×5, first 2 shown]
	v_sub_nc_u32_e32 v9, v1, v0
.LBB0_9:
	s_or_b32 exec_lo, exec_lo, s3
	s_wait_loadcnt 0x0
	s_wait_kmcnt 0x0
	v_lshl_add_u64 v[0:1], v[4:5], 2, s[0:1]
	global_store_b32 v[0:1], v9, off
.LBB0_10:
	s_endpgm
.LBB0_11:
	s_mov_b32 s2, exec_lo
	v_cmpx_lt_i32_e32 9, v3
	s_xor_b32 s2, exec_lo, s2
	s_cbranch_execz .LBB0_21
; %bb.12:
	s_mov_b32 s4, exec_lo
	v_cmpx_lt_i32_e32 10, v3
	s_xor_b32 s4, exec_lo, s4
	s_cbranch_execz .LBB0_18
; %bb.13:
	;; [unrolled: 5-line block ×3, first 2 shown]
	s_wait_loadcnt 0x0
	v_dual_add_nc_u32 v9, v2, v9 :: v_dual_add_nc_u32 v8, v1, v8
.LBB0_15:
	s_and_not1_saveexec_b32 s5, s5
	s_cbranch_execz .LBB0_17
; %bb.16:
	s_wait_loadcnt 0x0
	v_and_b32_e32 v3, 0xffffff, v2
	s_delay_alu instid0(VALU_DEP_1)
	v_dual_add_nc_u32 v8, v1, v8 :: v_dual_add_nc_u32 v9, v3, v9
.LBB0_17:
	s_or_b32 exec_lo, exec_lo, s5
.LBB0_18:
	s_and_not1_saveexec_b32 s4, s4
	s_cbranch_execz .LBB0_20
; %bb.19:
	s_wait_loadcnt 0x0
	v_and_b32_e32 v3, 0xffff, v2
	s_delay_alu instid0(VALU_DEP_1)
	v_dual_add_nc_u32 v8, v1, v8 :: v_dual_add_nc_u32 v9, v3, v9
.LBB0_20:
	s_or_b32 exec_lo, exec_lo, s4
                                        ; implicit-def: $vgpr3
.LBB0_21:
	s_and_not1_saveexec_b32 s2, s2
	s_cbranch_execz .LBB0_29
; %bb.22:
	s_mov_b32 s4, exec_lo
	v_cmpx_lt_i32_e32 7, v3
	s_xor_b32 s4, exec_lo, s4
	s_cbranch_execz .LBB0_26
; %bb.23:
	s_wait_loadcnt 0x0
	v_add_nc_u32_e32 v8, v1, v8
	s_mov_b32 s5, exec_lo
	v_cmpx_lt_i32_e32 8, v3
	s_xor_b32 s5, exec_lo, s5
; %bb.24:
	v_and_b32_e32 v2, 0xff, v2
	s_delay_alu instid0(VALU_DEP_1)
	v_add_nc_u32_e32 v9, v2, v9
; %bb.25:
	s_and_not1_saveexec_b32 s5, s5
	s_delay_alu instid0(SALU_CYCLE_1)
	s_or_b32 exec_lo, exec_lo, s5
.LBB0_26:
	s_and_not1_saveexec_b32 s4, s4
	s_cbranch_execz .LBB0_28
; %bb.27:
	s_wait_loadcnt 0x0
	v_and_b32_e32 v2, 0xffffff, v1
	s_delay_alu instid0(VALU_DEP_1)
	v_add_nc_u32_e32 v8, v2, v8
.LBB0_28:
	s_or_b32 exec_lo, exec_lo, s4
.LBB0_29:
	s_delay_alu instid0(SALU_CYCLE_1) | instskip(NEXT) | instid1(SALU_CYCLE_1)
	s_or_b32 exec_lo, exec_lo, s2
	s_mov_b32 s2, exec_lo
                                        ; implicit-def: $vgpr3
	s_and_not1_saveexec_b32 s3, s3
	s_cbranch_execz .LBB0_7
.LBB0_30:
	s_mov_b32 s4, s2
	s_mov_b32 s5, exec_lo
	v_cmpx_lt_i32_e32 3, v3
	s_xor_b32 s5, exec_lo, s5
	s_cbranch_execz .LBB0_38
; %bb.31:
	s_mov_b32 s4, exec_lo
	v_cmpx_lt_i32_e32 4, v3
	s_cbranch_execz .LBB0_37
; %bb.32:
	s_mov_b32 s6, exec_lo
	v_cmpx_lt_i32_e32 5, v3
	s_xor_b32 s6, exec_lo, s6
	s_cbranch_execz .LBB0_34
; %bb.33:
	s_wait_loadcnt 0x0
	v_and_b32_e32 v1, 0xffff, v1
	s_delay_alu instid0(VALU_DEP_1)
	v_add_nc_u32_e32 v8, v1, v8
.LBB0_34:
	s_and_not1_saveexec_b32 s6, s6
	s_cbranch_execz .LBB0_36
; %bb.35:
	s_wait_loadcnt 0x0
	v_and_b32_e32 v1, 0xff, v1
	s_delay_alu instid0(VALU_DEP_1)
	v_add_nc_u32_e32 v8, v1, v8
.LBB0_36:
	s_or_b32 exec_lo, exec_lo, s6
.LBB0_37:
	s_delay_alu instid0(SALU_CYCLE_1) | instskip(NEXT) | instid1(SALU_CYCLE_1)
	s_or_b32 exec_lo, exec_lo, s4
	s_or_b32 s4, s2, exec_lo
                                        ; implicit-def: $vgpr3
.LBB0_38:
	s_and_not1_saveexec_b32 s5, s5
	s_cbranch_execz .LBB0_50
; %bb.39:
	s_mov_b32 s6, s4
	s_mov_b32 s7, exec_lo
	v_cmpx_lt_i32_e32 1, v3
	s_xor_b32 s7, exec_lo, s7
	s_cbranch_execz .LBB0_45
; %bb.40:
	s_mov_b32 s6, exec_lo
	v_cmpx_lt_i32_e32 2, v3
	s_xor_b32 s6, exec_lo, s6
	s_cbranch_execz .LBB0_42
; %bb.41:
	s_wait_loadcnt 0x0
	v_and_b32_e32 v0, 0xffffff, v0
.LBB0_42:
	s_and_not1_saveexec_b32 s6, s6
	s_cbranch_execz .LBB0_44
; %bb.43:
	s_wait_loadcnt 0x0
	s_delay_alu instid0(VALU_DEP_1)
	v_and_b32_e32 v0, 0xffff, v0
.LBB0_44:
	s_or_b32 exec_lo, exec_lo, s6
	s_delay_alu instid0(SALU_CYCLE_1)
	s_or_b32 s6, s4, exec_lo
                                        ; implicit-def: $vgpr3
.LBB0_45:
	s_and_not1_saveexec_b32 s7, s7
	s_cbranch_execz .LBB0_49
; %bb.46:
	s_mov_b32 s8, s6
	s_mov_b32 s9, exec_lo
	v_cmpx_eq_u32_e32 1, v3
	s_cbranch_execz .LBB0_48
; %bb.47:
	s_wait_loadcnt 0x0
	v_and_b32_e32 v0, 0xff, v0
	s_or_b32 s8, s6, exec_lo
.LBB0_48:
	s_or_b32 exec_lo, exec_lo, s9
	s_delay_alu instid0(SALU_CYCLE_1) | instskip(SKIP_1) | instid1(SALU_CYCLE_1)
	s_and_not1_b32 s6, s6, exec_lo
	s_and_b32 s8, s8, exec_lo
	s_or_b32 s6, s6, s8
.LBB0_49:
	s_or_b32 exec_lo, exec_lo, s7
	s_delay_alu instid0(SALU_CYCLE_1) | instskip(SKIP_1) | instid1(SALU_CYCLE_1)
	s_and_not1_b32 s4, s4, exec_lo
	s_and_b32 s6, s6, exec_lo
	s_or_b32 s4, s4, s6
.LBB0_50:
	s_or_b32 exec_lo, exec_lo, s5
	s_delay_alu instid0(SALU_CYCLE_1) | instskip(SKIP_1) | instid1(SALU_CYCLE_1)
	s_and_not1_b32 s2, s2, exec_lo
	s_and_b32 s4, s4, exec_lo
	s_or_b32 s2, s2, s4
	s_or_b32 exec_lo, exec_lo, s3
	s_and_saveexec_b32 s3, s2
	s_cbranch_execnz .LBB0_8
	s_branch .LBB0_9
	.section	.rodata,"a",@progbits
	.p2align	6, 0x0
	.amdhsa_kernel _Z15jk3_hash_kernelPKjS0_S0_Pji
		.amdhsa_group_segment_fixed_size 0
		.amdhsa_private_segment_fixed_size 0
		.amdhsa_kernarg_size 296
		.amdhsa_user_sgpr_count 2
		.amdhsa_user_sgpr_dispatch_ptr 0
		.amdhsa_user_sgpr_queue_ptr 0
		.amdhsa_user_sgpr_kernarg_segment_ptr 1
		.amdhsa_user_sgpr_dispatch_id 0
		.amdhsa_user_sgpr_kernarg_preload_length 0
		.amdhsa_user_sgpr_kernarg_preload_offset 0
		.amdhsa_user_sgpr_private_segment_size 0
		.amdhsa_wavefront_size32 1
		.amdhsa_uses_dynamic_stack 0
		.amdhsa_enable_private_segment 0
		.amdhsa_system_sgpr_workgroup_id_x 1
		.amdhsa_system_sgpr_workgroup_id_y 0
		.amdhsa_system_sgpr_workgroup_id_z 0
		.amdhsa_system_sgpr_workgroup_info 0
		.amdhsa_system_vgpr_workitem_id 0
		.amdhsa_next_free_vgpr 12
		.amdhsa_next_free_sgpr 10
		.amdhsa_named_barrier_count 0
		.amdhsa_reserve_vcc 1
		.amdhsa_float_round_mode_32 0
		.amdhsa_float_round_mode_16_64 0
		.amdhsa_float_denorm_mode_32 3
		.amdhsa_float_denorm_mode_16_64 3
		.amdhsa_fp16_overflow 0
		.amdhsa_memory_ordered 1
		.amdhsa_forward_progress 1
		.amdhsa_inst_pref_size 11
		.amdhsa_round_robin_scheduling 0
		.amdhsa_exception_fp_ieee_invalid_op 0
		.amdhsa_exception_fp_denorm_src 0
		.amdhsa_exception_fp_ieee_div_zero 0
		.amdhsa_exception_fp_ieee_overflow 0
		.amdhsa_exception_fp_ieee_underflow 0
		.amdhsa_exception_fp_ieee_inexact 0
		.amdhsa_exception_int_div_zero 0
	.end_amdhsa_kernel
	.text
.Lfunc_end0:
	.size	_Z15jk3_hash_kernelPKjS0_S0_Pji, .Lfunc_end0-_Z15jk3_hash_kernelPKjS0_S0_Pji
                                        ; -- End function
	.set _Z15jk3_hash_kernelPKjS0_S0_Pji.num_vgpr, 12
	.set _Z15jk3_hash_kernelPKjS0_S0_Pji.num_agpr, 0
	.set _Z15jk3_hash_kernelPKjS0_S0_Pji.numbered_sgpr, 10
	.set _Z15jk3_hash_kernelPKjS0_S0_Pji.num_named_barrier, 0
	.set _Z15jk3_hash_kernelPKjS0_S0_Pji.private_seg_size, 0
	.set _Z15jk3_hash_kernelPKjS0_S0_Pji.uses_vcc, 1
	.set _Z15jk3_hash_kernelPKjS0_S0_Pji.uses_flat_scratch, 0
	.set _Z15jk3_hash_kernelPKjS0_S0_Pji.has_dyn_sized_stack, 0
	.set _Z15jk3_hash_kernelPKjS0_S0_Pji.has_recursion, 0
	.set _Z15jk3_hash_kernelPKjS0_S0_Pji.has_indirect_call, 0
	.section	.AMDGPU.csdata,"",@progbits
; Kernel info:
; codeLenInByte = 1304
; TotalNumSgprs: 12
; NumVgprs: 12
; ScratchSize: 0
; MemoryBound: 0
; FloatMode: 240
; IeeeMode: 1
; LDSByteSize: 0 bytes/workgroup (compile time only)
; SGPRBlocks: 0
; VGPRBlocks: 0
; NumSGPRsForWavesPerEU: 12
; NumVGPRsForWavesPerEU: 12
; NamedBarCnt: 0
; Occupancy: 16
; WaveLimiterHint : 0
; COMPUTE_PGM_RSRC2:SCRATCH_EN: 0
; COMPUTE_PGM_RSRC2:USER_SGPR: 2
; COMPUTE_PGM_RSRC2:TRAP_HANDLER: 0
; COMPUTE_PGM_RSRC2:TGID_X_EN: 1
; COMPUTE_PGM_RSRC2:TGID_Y_EN: 0
; COMPUTE_PGM_RSRC2:TGID_Z_EN: 0
; COMPUTE_PGM_RSRC2:TIDIG_COMP_CNT: 0
	.text
	.p2alignl 7, 3214868480
	.fill 96, 4, 3214868480
	.section	.AMDGPU.gpr_maximums,"",@progbits
	.set amdgpu.max_num_vgpr, 0
	.set amdgpu.max_num_agpr, 0
	.set amdgpu.max_num_sgpr, 0
	.text
	.type	__hip_cuid_a1b25301b5975b50,@object ; @__hip_cuid_a1b25301b5975b50
	.section	.bss,"aw",@nobits
	.globl	__hip_cuid_a1b25301b5975b50
__hip_cuid_a1b25301b5975b50:
	.byte	0                               ; 0x0
	.size	__hip_cuid_a1b25301b5975b50, 1

	.ident	"AMD clang version 22.0.0git (https://github.com/RadeonOpenCompute/llvm-project roc-7.2.4 26084 f58b06dce1f9c15707c5f808fd002e18c2accf7e)"
	.section	".note.GNU-stack","",@progbits
	.addrsig
	.addrsig_sym __hip_cuid_a1b25301b5975b50
	.amdgpu_metadata
---
amdhsa.kernels:
  - .args:
      - .actual_access:  read_only
        .address_space:  global
        .offset:         0
        .size:           8
        .value_kind:     global_buffer
      - .actual_access:  read_only
        .address_space:  global
        .offset:         8
        .size:           8
        .value_kind:     global_buffer
      - .actual_access:  read_only
        .address_space:  global
        .offset:         16
        .size:           8
        .value_kind:     global_buffer
      - .actual_access:  write_only
        .address_space:  global
        .offset:         24
        .size:           8
        .value_kind:     global_buffer
      - .offset:         32
        .size:           4
        .value_kind:     by_value
      - .offset:         40
        .size:           4
        .value_kind:     hidden_block_count_x
      - .offset:         44
        .size:           4
        .value_kind:     hidden_block_count_y
      - .offset:         48
        .size:           4
        .value_kind:     hidden_block_count_z
      - .offset:         52
        .size:           2
        .value_kind:     hidden_group_size_x
      - .offset:         54
        .size:           2
        .value_kind:     hidden_group_size_y
      - .offset:         56
        .size:           2
        .value_kind:     hidden_group_size_z
      - .offset:         58
        .size:           2
        .value_kind:     hidden_remainder_x
      - .offset:         60
        .size:           2
        .value_kind:     hidden_remainder_y
      - .offset:         62
        .size:           2
        .value_kind:     hidden_remainder_z
      - .offset:         80
        .size:           8
        .value_kind:     hidden_global_offset_x
      - .offset:         88
        .size:           8
        .value_kind:     hidden_global_offset_y
      - .offset:         96
        .size:           8
        .value_kind:     hidden_global_offset_z
      - .offset:         104
        .size:           2
        .value_kind:     hidden_grid_dims
    .group_segment_fixed_size: 0
    .kernarg_segment_align: 8
    .kernarg_segment_size: 296
    .language:       OpenCL C
    .language_version:
      - 2
      - 0
    .max_flat_workgroup_size: 1024
    .name:           _Z15jk3_hash_kernelPKjS0_S0_Pji
    .private_segment_fixed_size: 0
    .sgpr_count:     12
    .sgpr_spill_count: 0
    .symbol:         _Z15jk3_hash_kernelPKjS0_S0_Pji.kd
    .uniform_work_group_size: 1
    .uses_dynamic_stack: false
    .vgpr_count:     12
    .vgpr_spill_count: 0
    .wavefront_size: 32
amdhsa.target:   amdgcn-amd-amdhsa--gfx1250
amdhsa.version:
  - 1
  - 2
...

	.end_amdgpu_metadata
